;; amdgpu-corpus repo=zjin-lcf/HeCBench kind=compiled arch=gfx90a opt=O3
	.text
	.amdgcn_target "amdgcn-amd-amdhsa--gfx90a"
	.amdhsa_code_object_version 6
	.protected	_Z17compute_biclusterPKfiiifPcS1_PfPiS3_S1_S1_ ; -- Begin function _Z17compute_biclusterPKfiiifPcS1_PfPiS3_S1_S1_
	.globl	_Z17compute_biclusterPKfiiifPcS1_PfPiS3_S1_S1_
	.p2align	8
	.type	_Z17compute_biclusterPKfiiifPcS1_PfPiS3_S1_S1_,@function
_Z17compute_biclusterPKfiiifPcS1_PfPiS3_S1_S1_: ; @_Z17compute_biclusterPKfiiifPcS1_PfPiS3_S1_S1_
; %bb.0:
	s_load_dword s0, s[4:5], 0x5c
	s_load_dwordx4 s[8:11], s[4:5], 0x8
	s_waitcnt lgkmcnt(0)
	s_and_b32 s0, s0, 0xffff
	s_mul_i32 s6, s6, s0
	v_add_u32_e32 v0, s6, v0
	v_cmp_gt_i32_e32 vcc, s9, v0
	s_and_saveexec_b64 s[0:1], vcc
	s_cbranch_execz .LBB0_109
; %bb.1:
	s_load_dwordx4 s[0:3], s[4:5], 0x28
	v_ashrrev_i32_e32 v1, 31, v0
	v_lshlrev_b64 v[10:11], 2, v[0:1]
	v_mov_b32_e32 v40, 0
	s_waitcnt lgkmcnt(0)
	v_mov_b32_e32 v1, s1
	v_add_co_u32_e32 v2, vcc, s0, v10
	v_addc_co_u32_e32 v3, vcc, v1, v11, vcc
	v_mov_b32_e32 v1, 1.0
	global_store_dword v[2:3], v1, off
	v_mov_b32_e32 v1, s3
	v_add_co_u32_e32 v4, vcc, s2, v10
	v_addc_co_u32_e32 v5, vcc, v1, v11, vcc
	v_add_u32_e32 v1, 1, v0
	v_cmp_gt_i32_e32 vcc, s8, v1
	global_store_dword v[4:5], v40, off
	s_and_b64 exec, exec, vcc
	s_cbranch_execz .LBB0_109
; %bb.2:
	s_add_i32 s9, s10, 1
	s_load_dwordx2 s[6:7], s[4:5], 0x0
	s_load_dwordx4 s[0:3], s[4:5], 0x18
	v_mul_lo_u32 v6, v0, s9
	v_add_u32_e32 v8, s10, v6
	v_ashrrev_i32_e32 v9, 31, v8
	v_lshlrev_b64 v[8:9], 2, v[8:9]
	s_waitcnt lgkmcnt(0)
	v_mov_b32_e32 v13, s7
	v_add_co_u32_e32 v8, vcc, s6, v8
	v_addc_co_u32_e32 v9, vcc, v13, v9, vcc
	global_load_dword v38, v[8:9], off
	s_load_dwordx2 s[16:17], s[4:5], 0x48
	s_load_dwordx4 s[12:15], s[4:5], 0x38
	s_cmp_gt_i32 s10, 0
	v_mul_lo_u32 v39, v0, s8
	s_cselect_b64 s[24:25], -1, 0
	s_cmp_gt_i32 s8, 0
	v_add_u32_e32 v7, v39, v0
	s_cselect_b64 s[18:19], -1, 0
	s_cmp_lt_i32 s8, 1
	v_ashrrev_i32_e32 v9, 31, v7
	s_waitcnt lgkmcnt(0)
	v_mov_b32_e32 v21, s17
	v_add_co_u32_e32 v8, vcc, s16, v7
	s_cselect_b64 s[20:21], -1, 0
	v_addc_co_u32_e32 v9, vcc, v21, v9, vcc
	s_cmp_lg_u32 s10, 1
	v_mov_b32_e32 v7, s13
	v_add_co_u32_e32 v10, vcc, s12, v10
	s_cselect_b64 s[12:13], -1, 0
	s_and_b32 s33, s10, 0x7ffffffe
	s_bitcmp1_b32 s10, 0
	v_addc_co_u32_e32 v11, vcc, v7, v11, vcc
	s_cselect_b64 s[22:23], -1, 0
	s_add_u32 s44, s6, 4
	v_ashrrev_i32_e32 v7, 31, v6
	s_addc_u32 s45, s7, 0
	v_lshlrev_b64 v[16:17], 2, v[6:7]
	v_mov_b32_e32 v7, s45
	v_add_co_u32_e32 v14, vcc, s44, v16
	v_addc_co_u32_e32 v15, vcc, v7, v17, vcc
	v_add_co_u32_e32 v16, vcc, s6, v16
	v_mul_lo_u32 v24, v0, s10
	v_addc_co_u32_e32 v17, vcc, v13, v17, vcc
	v_ashrrev_i32_e32 v7, 31, v24
	v_mov_b32_e32 v13, s15
	v_add_co_u32_e32 v18, vcc, s14, v24
	v_addc_co_u32_e32 v19, vcc, v13, v7, vcc
	v_ashrrev_i32_e32 v13, 31, v39
	v_add_co_u32_e32 v20, vcc, s16, v39
	v_addc_co_u32_e32 v21, vcc, v21, v13, vcc
	v_mov_b32_e32 v23, s3
	v_add_co_u32_e32 v22, vcc, s2, v39
	v_addc_co_u32_e32 v23, vcc, v23, v13, vcc
	v_mov_b32_e32 v13, s1
	v_add_co_u32_e32 v24, vcc, s0, v24
	v_addc_co_u32_e32 v25, vcc, v13, v7, vcc
	v_cndmask_b32_e64 v13, 0, 1, s[24:25]
	s_mov_b32 s5, 0
	v_mul_lo_u32 v12, v1, s9
	s_mov_b64 s[14:15], 0
	s_mov_b32 s46, 0xf800000
	v_mov_b32_e32 v7, 0x260
	s_mov_b32 s47, 0x3c23d70a
	v_cmp_ne_u32_e64 s[0:1], 1, v13
	v_mov_b32_e32 v41, 49
	v_mov_b32_e32 v42, 48
                                        ; implicit-def: $vgpr43
	s_branch .LBB0_4
.LBB0_3:                                ;   in Loop: Header=BB0_4 Depth=1
	v_add_u32_e32 v1, 1, v1
	v_cmp_le_i32_e32 vcc, s8, v1
	s_or_b64 s[14:15], vcc, s[14:15]
	v_add_u32_e32 v12, s9, v12
	s_andn2_b64 exec, exec, s[14:15]
	s_cbranch_execz .LBB0_109
.LBB0_4:                                ; =>This Loop Header: Depth=1
                                        ;     Child Loop BB0_9 Depth 2
                                        ;     Child Loop BB0_47 Depth 2
                                        ;       Child Loop BB0_56 Depth 3
                                        ;       Child Loop BB0_59 Depth 3
	;; [unrolled: 1-line block ×7, first 2 shown]
                                        ;         Child Loop BB0_81 Depth 4
                                        ;           Child Loop BB0_84 Depth 5
                                        ;           Child Loop BB0_87 Depth 5
	;; [unrolled: 1-line block ×4, first 2 shown]
                                        ;       Child Loop BB0_106 Depth 3
                                        ;       Child Loop BB0_108 Depth 3
	v_ashrrev_i32_e32 v13, 31, v12
	v_lshlrev_b64 v[26:27], 2, v[12:13]
	s_and_b64 vcc, exec, s[0:1]
	v_mov_b32_e32 v13, 0
	v_mov_b32_e32 v45, 0
	;; [unrolled: 1-line block ×3, first 2 shown]
	s_cbranch_vccnz .LBB0_41
; %bb.5:                                ;   in Loop: Header=BB0_4 Depth=1
	v_mul_lo_u32 v33, v1, s9
	v_add_u32_e32 v28, s10, v33
	v_ashrrev_i32_e32 v29, 31, v28
	v_lshlrev_b64 v[28:29], 2, v[28:29]
	v_mov_b32_e32 v13, s7
	v_add_co_u32_e32 v28, vcc, s6, v28
	v_addc_co_u32_e32 v29, vcc, v13, v29, vcc
	global_load_dword v32, v[28:29], off
	s_andn2_b64 vcc, exec, s[12:13]
	v_mov_b32_e32 v44, 0
	s_cbranch_vccnz .LBB0_28
; %bb.6:                                ;   in Loop: Header=BB0_4 Depth=1
	v_mov_b32_e32 v13, s45
	v_add_co_u32_e32 v28, vcc, s44, v26
	v_addc_co_u32_e32 v29, vcc, v13, v27, vcc
	s_mov_b32 s4, 0
	v_mov_b32_e32 v13, 0
	v_pk_mov_b32 v[30:31], v[14:15], v[14:15] op_sel:[0,1]
	v_mov_b32_e32 v45, 0
	v_mov_b32_e32 v44, 0
	s_branch .LBB0_9
.LBB0_7:                                ;   in Loop: Header=BB0_9 Depth=2
	s_or_b64 exec, exec, s[2:3]
.LBB0_8:                                ;   in Loop: Header=BB0_9 Depth=2
	s_or_b64 exec, exec, s[24:25]
	v_add_co_u32_e32 v28, vcc, 8, v28
	v_addc_co_u32_e32 v29, vcc, 0, v29, vcc
	s_add_i32 s4, s4, 2
	v_add_co_u32_e32 v30, vcc, 8, v30
	s_cmp_eq_u32 s33, s4
	v_addc_co_u32_e32 v31, vcc, 0, v31, vcc
	s_cbranch_scc1 .LBB0_29
.LBB0_9:                                ;   Parent Loop BB0_4 Depth=1
                                        ; =>  This Inner Loop Header: Depth=2
	global_load_dword v34, v[30:31], off offset:-4
	global_load_dword v36, v[28:29], off offset:-4
	s_waitcnt vmcnt(1)
	v_sub_f32_e32 v34, v34, v38
	s_waitcnt vmcnt(0)
	v_sub_f32_e32 v35, v36, v32
	v_cmp_le_f32_e32 vcc, 0, v34
	v_cmp_le_f32_e64 s[2:3], 0, v35
	s_and_b64 s[2:3], vcc, s[2:3]
	s_and_saveexec_b64 s[24:25], s[2:3]
	s_xor_b64 s[2:3], exec, s[24:25]
	s_cbranch_execz .LBB0_11
; %bb.10:                               ;   in Loop: Header=BB0_9 Depth=2
	v_mov_b32_e32 v34, s4
	v_add_u32_e32 v13, 1, v13
	ds_write_b8 v34, v41 offset:1600
	ds_write_b8 v34, v42 offset:1603
	;; [unrolled: 1-line block ×3, first 2 shown]
                                        ; implicit-def: $vgpr34
                                        ; implicit-def: $vgpr36
                                        ; implicit-def: $vgpr35
.LBB0_11:                               ;   in Loop: Header=BB0_9 Depth=2
	s_andn2_saveexec_b64 s[24:25], s[2:3]
	s_cbranch_execz .LBB0_19
; %bb.12:                               ;   in Loop: Header=BB0_9 Depth=2
	v_cmp_ngt_f32_e32 vcc, 0, v34
	v_cmp_nlt_f32_e64 s[2:3], v36, v32
	s_or_b64 s[2:3], vcc, s[2:3]
	s_and_saveexec_b64 s[26:27], s[2:3]
	s_xor_b64 s[2:3], exec, s[26:27]
	s_cbranch_execz .LBB0_16
; %bb.13:                               ;   in Loop: Header=BB0_9 Depth=2
	v_mul_f32_e32 v34, v34, v35
	v_cmp_gt_f32_e32 vcc, 0, v34
	s_and_saveexec_b64 s[26:27], vcc
	s_cbranch_execz .LBB0_15
; %bb.14:                               ;   in Loop: Header=BB0_9 Depth=2
	v_add_u32_e32 v45, 1, v45
	v_mov_b32_e32 v34, s4
	ds_write_b8 v34, v42 offset:1600
	ds_write_b8 v34, v42 offset:1603
	;; [unrolled: 1-line block ×3, first 2 shown]
.LBB0_15:                               ;   in Loop: Header=BB0_9 Depth=2
	s_or_b64 exec, exec, s[26:27]
.LBB0_16:                               ;   in Loop: Header=BB0_9 Depth=2
	s_andn2_saveexec_b64 s[2:3], s[2:3]
	s_cbranch_execz .LBB0_18
; %bb.17:                               ;   in Loop: Header=BB0_9 Depth=2
	v_mov_b32_e32 v34, s4
	v_add_u32_e32 v44, 1, v44
	ds_write_b8 v34, v42 offset:1600
	ds_write_b8 v34, v41 offset:1603
	;; [unrolled: 1-line block ×3, first 2 shown]
.LBB0_18:                               ;   in Loop: Header=BB0_9 Depth=2
	s_or_b64 exec, exec, s[2:3]
.LBB0_19:                               ;   in Loop: Header=BB0_9 Depth=2
	s_or_b64 exec, exec, s[24:25]
	global_load_dword v34, v[30:31], off
	global_load_dword v36, v[28:29], off
	s_waitcnt vmcnt(1)
	v_sub_f32_e32 v34, v34, v38
	s_waitcnt vmcnt(0)
	v_sub_f32_e32 v35, v36, v32
	v_cmp_le_f32_e32 vcc, 0, v34
	v_cmp_le_f32_e64 s[2:3], 0, v35
	s_and_b64 s[2:3], vcc, s[2:3]
	s_and_saveexec_b64 s[24:25], s[2:3]
	s_xor_b64 s[2:3], exec, s[24:25]
	s_cbranch_execz .LBB0_21
; %bb.20:                               ;   in Loop: Header=BB0_9 Depth=2
	v_mov_b32_e32 v34, s4
	v_add_u32_e32 v13, 1, v13
	ds_write_b8 v34, v41 offset:1601
	ds_write_b8 v34, v42 offset:1604
	;; [unrolled: 1-line block ×3, first 2 shown]
                                        ; implicit-def: $vgpr34
                                        ; implicit-def: $vgpr36
                                        ; implicit-def: $vgpr35
.LBB0_21:                               ;   in Loop: Header=BB0_9 Depth=2
	s_andn2_saveexec_b64 s[24:25], s[2:3]
	s_cbranch_execz .LBB0_8
; %bb.22:                               ;   in Loop: Header=BB0_9 Depth=2
	v_cmp_ngt_f32_e32 vcc, 0, v34
	v_cmp_nlt_f32_e64 s[2:3], v36, v32
	s_or_b64 s[2:3], vcc, s[2:3]
	s_and_saveexec_b64 s[26:27], s[2:3]
	s_xor_b64 s[2:3], exec, s[26:27]
	s_cbranch_execz .LBB0_26
; %bb.23:                               ;   in Loop: Header=BB0_9 Depth=2
	v_mul_f32_e32 v34, v34, v35
	v_cmp_gt_f32_e32 vcc, 0, v34
	s_and_saveexec_b64 s[26:27], vcc
	s_cbranch_execz .LBB0_25
; %bb.24:                               ;   in Loop: Header=BB0_9 Depth=2
	v_add_u32_e32 v45, 1, v45
	v_mov_b32_e32 v34, s4
	ds_write_b8 v34, v42 offset:1601
	ds_write_b8 v34, v42 offset:1604
	;; [unrolled: 1-line block ×3, first 2 shown]
.LBB0_25:                               ;   in Loop: Header=BB0_9 Depth=2
	s_or_b64 exec, exec, s[26:27]
.LBB0_26:                               ;   in Loop: Header=BB0_9 Depth=2
	s_andn2_saveexec_b64 s[2:3], s[2:3]
	s_cbranch_execz .LBB0_7
; %bb.27:                               ;   in Loop: Header=BB0_9 Depth=2
	v_mov_b32_e32 v34, s4
	v_add_u32_e32 v44, 1, v44
	ds_write_b8 v34, v42 offset:1601
	ds_write_b8 v34, v41 offset:1604
	;; [unrolled: 1-line block ×3, first 2 shown]
	s_branch .LBB0_7
.LBB0_28:                               ;   in Loop: Header=BB0_4 Depth=1
	v_mov_b32_e32 v45, 0
	v_mov_b32_e32 v13, 0
	s_mov_b32 s4, s5
	s_andn2_b64 vcc, exec, s[22:23]
	s_cbranch_vccz .LBB0_30
	s_branch .LBB0_41
.LBB0_29:                               ;   in Loop: Header=BB0_4 Depth=1
	s_mov_b32 s4, s33
	s_andn2_b64 vcc, exec, s[22:23]
	s_cbranch_vccnz .LBB0_41
.LBB0_30:                               ;   in Loop: Header=BB0_4 Depth=1
	v_add_u32_e32 v28, s4, v6
	v_ashrrev_i32_e32 v29, 31, v28
	v_lshlrev_b64 v[28:29], 2, v[28:29]
	v_add_u32_e32 v30, s4, v33
	v_mov_b32_e32 v35, s7
	v_add_co_u32_e32 v28, vcc, s6, v28
	v_ashrrev_i32_e32 v31, 31, v30
	v_addc_co_u32_e32 v29, vcc, v35, v29, vcc
	v_lshlrev_b64 v[30:31], 2, v[30:31]
	v_add_co_u32_e32 v34, vcc, s6, v30
	v_addc_co_u32_e32 v35, vcc, v35, v31, vcc
	global_load_dword v31, v[28:29], off
	global_load_dword v30, v[34:35], off
	s_waitcnt vmcnt(1)
	v_sub_f32_e32 v28, v31, v38
	s_waitcnt vmcnt(0)
	v_sub_f32_e32 v29, v30, v32
	v_cmp_le_f32_e32 vcc, 0, v28
	v_cmp_le_f32_e64 s[2:3], 0, v29
	s_and_b64 s[2:3], vcc, s[2:3]
	s_and_saveexec_b64 s[24:25], s[2:3]
	s_xor_b64 s[2:3], exec, s[24:25]
	s_cbranch_execz .LBB0_32
; %bb.31:                               ;   in Loop: Header=BB0_4 Depth=1
	v_mov_b32_e32 v28, s4
	v_add_u32_e32 v13, 1, v13
	ds_write_b8 v28, v41 offset:1600
	ds_write_b8 v28, v42 offset:1603
	ds_write_b8 v28, v42 offset:1606
                                        ; implicit-def: $vgpr28
                                        ; implicit-def: $vgpr30
                                        ; implicit-def: $vgpr32
                                        ; implicit-def: $vgpr29
.LBB0_32:                               ;   in Loop: Header=BB0_4 Depth=1
	s_andn2_saveexec_b64 s[24:25], s[2:3]
	s_cbranch_execz .LBB0_40
; %bb.33:                               ;   in Loop: Header=BB0_4 Depth=1
	v_cmp_ngt_f32_e32 vcc, 0, v28
	v_cmp_nlt_f32_e64 s[2:3], v30, v32
	s_or_b64 s[2:3], vcc, s[2:3]
	s_and_saveexec_b64 s[26:27], s[2:3]
	s_xor_b64 s[2:3], exec, s[26:27]
	s_cbranch_execz .LBB0_37
; %bb.34:                               ;   in Loop: Header=BB0_4 Depth=1
	v_mul_f32_e32 v28, v28, v29
	v_cmp_gt_f32_e32 vcc, 0, v28
	s_and_saveexec_b64 s[26:27], vcc
	s_cbranch_execz .LBB0_36
; %bb.35:                               ;   in Loop: Header=BB0_4 Depth=1
	v_add_u32_e32 v45, 1, v45
	v_mov_b32_e32 v28, s4
	ds_write_b8 v28, v42 offset:1600
	ds_write_b8 v28, v42 offset:1603
	;; [unrolled: 1-line block ×3, first 2 shown]
.LBB0_36:                               ;   in Loop: Header=BB0_4 Depth=1
	s_or_b64 exec, exec, s[26:27]
.LBB0_37:                               ;   in Loop: Header=BB0_4 Depth=1
	s_andn2_saveexec_b64 s[2:3], s[2:3]
	s_cbranch_execz .LBB0_39
; %bb.38:                               ;   in Loop: Header=BB0_4 Depth=1
	v_mov_b32_e32 v28, s4
	v_add_u32_e32 v44, 1, v44
	ds_write_b8 v28, v42 offset:1600
	ds_write_b8 v28, v41 offset:1603
	ds_write_b8 v28, v42 offset:1606
.LBB0_39:                               ;   in Loop: Header=BB0_4 Depth=1
	s_or_b64 exec, exec, s[2:3]
.LBB0_40:                               ;   in Loop: Header=BB0_4 Depth=1
	s_or_b64 exec, exec, s[24:25]
.LBB0_41:                               ;   in Loop: Header=BB0_4 Depth=1
	v_mov_b32_e32 v28, s7
	v_add_co_u32_e32 v26, vcc, s6, v26
	v_addc_co_u32_e32 v27, vcc, v28, v27, vcc
	v_add_u32_e32 v28, v1, v39
	v_ashrrev_i32_e32 v29, 31, v28
	v_mov_b32_e32 v30, s17
	v_add_co_u32_e32 v28, vcc, s16, v28
	v_addc_co_u32_e32 v29, vcc, v30, v29, vcc
	s_mov_b32 s48, 0
	s_movk_i32 s49, 0x640
	s_branch .LBB0_47
.LBB0_42:                               ;   in Loop: Header=BB0_47 Depth=2
	v_mov_b32_e32 v40, v48
	global_store_dword v[4:5], v48, off
	global_store_dword v[10:11], v43, off
.LBB0_43:                               ;   in Loop: Header=BB0_47 Depth=2
	s_or_b64 exec, exec, s[28:29]
.LBB0_44:                               ;   in Loop: Header=BB0_47 Depth=2
	s_or_b64 exec, exec, s[2:3]
.LBB0_45:                               ;   in Loop: Header=BB0_47 Depth=2
	s_or_b64 exec, exec, s[26:27]
.LBB0_46:                               ;   in Loop: Header=BB0_47 Depth=2
	s_or_b64 exec, exec, s[24:25]
	s_add_i32 s48, s48, 1
	s_addk_i32 s49, 0xc8
	s_cmp_eq_u32 s48, 3
	s_cbranch_scc1 .LBB0_3
.LBB0_47:                               ;   Parent Loop BB0_4 Depth=1
                                        ; =>  This Loop Header: Depth=2
                                        ;       Child Loop BB0_56 Depth 3
                                        ;       Child Loop BB0_59 Depth 3
	;; [unrolled: 1-line block ×7, first 2 shown]
                                        ;         Child Loop BB0_81 Depth 4
                                        ;           Child Loop BB0_84 Depth 5
                                        ;           Child Loop BB0_87 Depth 5
	;; [unrolled: 1-line block ×4, first 2 shown]
                                        ;       Child Loop BB0_106 Depth 3
                                        ;       Child Loop BB0_108 Depth 3
	s_cmp_lt_i32 s48, 1
	v_mov_b32_e32 v30, v13
	s_cbranch_scc1 .LBB0_53
; %bb.48:                               ;   in Loop: Header=BB0_47 Depth=2
	s_cmp_lg_u32 s48, 1
	s_cbranch_scc0 .LBB0_50
; %bb.49:                               ;   in Loop: Header=BB0_47 Depth=2
	s_cbranch_execz .LBB0_51
	s_branch .LBB0_52
.LBB0_50:                               ;   in Loop: Header=BB0_47 Depth=2
                                        ; implicit-def: $vgpr43
.LBB0_51:                               ;   in Loop: Header=BB0_47 Depth=2
	v_mov_b32_e32 v43, v44
.LBB0_52:                               ;   in Loop: Header=BB0_47 Depth=2
	v_mov_b32_e32 v30, v43
.LBB0_53:                               ;   in Loop: Header=BB0_47 Depth=2
	s_cmp_eq_u32 s48, 2
	s_cselect_b64 vcc, -1, 0
	v_cndmask_b32_e32 v43, v30, v45, vcc
	v_cmp_lt_i32_e32 vcc, 10, v43
	s_and_saveexec_b64 s[24:25], vcc
	s_cbranch_execz .LBB0_46
; %bb.54:                               ;   in Loop: Header=BB0_47 Depth=2
	s_and_b64 vcc, exec, s[0:1]
	s_waitcnt vmcnt(0)
	v_mov_b32_e32 v32, 0
	v_mov_b32_e32 v33, 0
	s_cbranch_vccnz .LBB0_57
; %bb.55:                               ;   in Loop: Header=BB0_47 Depth=2
	s_movk_i32 s2, 0x320
	v_mov_b32_e32 v32, 0
	v_pk_mov_b32 v[30:31], v[16:17], v[16:17] op_sel:[0,1]
	s_mov_b32 s3, s10
	s_mov_b32 s4, s49
	v_mov_b32_e32 v33, 0
.LBB0_56:                               ;   Parent Loop BB0_4 Depth=1
                                        ;     Parent Loop BB0_47 Depth=2
                                        ; =>    This Inner Loop Header: Depth=3
	global_load_dword v34, v[30:31], off
	v_mov_b32_e32 v36, s4
	ds_read_u8 v36, v36
	v_add_co_u32_e32 v30, vcc, 4, v30
	v_mov_b32_e32 v35, s2
	v_addc_co_u32_e32 v31, vcc, 0, v31, vcc
	s_add_i32 s4, s4, 1
	s_add_i32 s3, s3, -1
	s_add_i32 s2, s2, 4
	s_waitcnt lgkmcnt(0)
	v_cmp_eq_u16_e32 vcc, 49, v36
	s_cmp_lg_u32 s3, 0
	s_waitcnt vmcnt(0)
	ds_write_b32 v35, v34
	v_add_f32_e32 v35, v33, v34
	v_add_f32_e32 v34, v32, v34
	v_cndmask_b32_e32 v33, v33, v35, vcc
	v_cndmask_b32_e32 v32, v34, v32, vcc
	s_cbranch_scc1 .LBB0_56
.LBB0_57:                               ;   in Loop: Header=BB0_47 Depth=2
	v_cvt_f32_u32_e32 v46, v43
	v_sub_u32_e32 v30, s10, v43
	v_cvt_f32_i32_e32 v47, v30
	v_mov_b32_e32 v48, 0
	v_div_scale_f32 v31, s[2:3], v46, v46, v33
	v_rcp_f32_e32 v34, v31
	v_div_scale_f32 v30, vcc, v33, v46, v33
	v_mov_b32_e32 v49, 0
	v_fma_f32 v35, -v31, v34, 1.0
	v_fmac_f32_e32 v34, v35, v34
	v_mul_f32_e32 v35, v30, v34
	v_fma_f32 v36, -v31, v35, v30
	v_fmac_f32_e32 v35, v36, v34
	v_fma_f32 v30, -v31, v35, v30
	v_div_scale_f32 v31, s[2:3], v47, v47, v32
	v_rcp_f32_e32 v36, v31
	v_div_fmas_f32 v30, v30, v34, v35
	v_div_fixup_f32 v30, v30, v46, v33
	s_mov_b32 s2, 0
	v_fma_f32 v33, -v31, v36, 1.0
	v_fmac_f32_e32 v36, v33, v36
	v_div_scale_f32 v33, vcc, v32, v47, v32
	v_mul_f32_e32 v34, v33, v36
	v_fma_f32 v35, -v31, v34, v33
	v_fmac_f32_e32 v34, v35, v36
	v_fma_f32 v31, -v31, v34, v33
	v_div_fmas_f32 v31, v31, v36, v34
	v_div_fixup_f32 v32, v31, v47, v32
	s_and_b64 vcc, exec, s[0:1]
	s_cbranch_vccnz .LBB0_60
; %bb.58:                               ;   in Loop: Header=BB0_47 Depth=2
	s_movk_i32 s3, 0x320
	v_mov_b32_e32 v48, 0
	v_mov_b32_e32 v49, 0
.LBB0_59:                               ;   Parent Loop BB0_4 Depth=1
                                        ;     Parent Loop BB0_47 Depth=2
                                        ; =>    This Inner Loop Header: Depth=3
	s_add_i32 s4, s49, s2
	v_mov_b32_e32 v31, s3
	ds_read_b32 v31, v31
	v_mov_b32_e32 v33, s4
	ds_read_u8 v33, v33
	s_add_i32 s2, s2, 1
	s_add_i32 s3, s3, 4
	s_waitcnt lgkmcnt(1)
	v_sub_f32_e32 v34, v30, v31
	v_sub_f32_e32 v31, v32, v31
	v_fma_f32 v34, v34, v34, v49
	v_fma_f32 v31, v31, v31, v48
	s_waitcnt lgkmcnt(0)
	v_cmp_eq_u16_e32 vcc, 49, v33
	s_cmp_eq_u32 s10, s2
	v_cndmask_b32_e32 v49, v49, v34, vcc
	v_cndmask_b32_e32 v48, v31, v48, vcc
	s_cbranch_scc0 .LBB0_59
.LBB0_60:                               ;   in Loop: Header=BB0_47 Depth=2
	s_mov_b32 s2, 0
	s_and_b64 vcc, exec, s[0:1]
	v_mov_b32_e32 v33, 0
	v_mov_b32_e32 v31, 0
	s_cbranch_vccnz .LBB0_63
; %bb.61:                               ;   in Loop: Header=BB0_47 Depth=2
	s_mov_b32 s3, 0
	v_mov_b32_e32 v33, 0
	v_pk_mov_b32 v[34:35], v[26:27], v[26:27] op_sel:[0,1]
	v_mov_b32_e32 v31, 0
.LBB0_62:                               ;   Parent Loop BB0_4 Depth=1
                                        ;     Parent Loop BB0_47 Depth=2
                                        ; =>    This Inner Loop Header: Depth=3
	global_load_dword v36, v[34:35], off
	s_add_i32 s4, s49, s3
	v_mov_b32_e32 v50, s4
	ds_read_u8 v50, v50
	v_add_co_u32_e32 v34, vcc, 4, v34
	v_mov_b32_e32 v37, s2
	v_addc_co_u32_e32 v35, vcc, 0, v35, vcc
	s_add_i32 s3, s3, 1
	s_add_i32 s2, s2, 4
	s_waitcnt lgkmcnt(0)
	v_cmp_eq_u16_e32 vcc, 49, v50
	s_cmp_lg_u32 s10, s3
	s_waitcnt vmcnt(0)
	ds_write_b32 v37, v36
	v_add_f32_e32 v37, v31, v36
	v_add_f32_e32 v36, v33, v36
	v_cndmask_b32_e32 v31, v31, v37, vcc
	v_cndmask_b32_e32 v33, v36, v33, vcc
	s_cbranch_scc1 .LBB0_62
.LBB0_63:                               ;   in Loop: Header=BB0_47 Depth=2
	v_mov_b32_e32 v35, 0
	s_and_b64 vcc, exec, s[0:1]
	v_mov_b32_e32 v34, v35
	v_mov_b32_e32 v37, v35
	;; [unrolled: 1-line block ×3, first 2 shown]
	s_cbranch_vccnz .LBB0_66
; %bb.64:                               ;   in Loop: Header=BB0_47 Depth=2
	v_div_scale_f32 v34, s[2:3], v46, v46, v31
	v_rcp_f32_e32 v35, v34
	v_div_scale_f32 v36, vcc, v31, v46, v31
	v_fma_f32 v37, -v34, v35, 1.0
	v_fmac_f32_e32 v35, v37, v35
	v_mul_f32_e32 v37, v36, v35
	v_fma_f32 v50, -v34, v37, v36
	v_fmac_f32_e32 v37, v50, v35
	v_fma_f32 v34, -v34, v37, v36
	v_div_scale_f32 v36, s[2:3], v47, v47, v33
	v_rcp_f32_e32 v50, v36
	v_div_fmas_f32 v34, v34, v35, v37
	v_div_fixup_f32 v31, v34, v46, v31
	s_mov_b32 s2, 0
	v_fma_f32 v34, -v36, v50, 1.0
	v_fmac_f32_e32 v50, v34, v50
	v_div_scale_f32 v34, vcc, v33, v47, v33
	v_mul_f32_e32 v35, v34, v50
	v_fma_f32 v37, -v36, v35, v34
	v_fmac_f32_e32 v35, v37, v50
	v_fma_f32 v34, -v36, v35, v34
	v_div_fmas_f32 v34, v34, v50, v35
	v_div_fixup_f32 v33, v34, v47, v33
	s_mov_b32 s3, 0
	v_mov_b32_e32 v36, 0
	v_mov_b32_e32 v37, 0
	;; [unrolled: 1-line block ×4, first 2 shown]
.LBB0_65:                               ;   Parent Loop BB0_4 Depth=1
                                        ;     Parent Loop BB0_47 Depth=2
                                        ; =>    This Inner Loop Header: Depth=3
	v_mov_b32_e32 v50, s2
	s_add_i32 s4, s49, s3
	ds_read2_b32 v[50:51], v50 offset1:200
	v_mov_b32_e32 v52, s4
	ds_read_u8 v54, v52
	s_add_i32 s3, s3, 1
	s_add_i32 s2, s2, 4
	s_waitcnt lgkmcnt(1)
	v_mov_b32_e32 v52, v51
	v_mov_b32_e32 v53, v50
	v_pk_add_f32 v[50:51], v[30:31], v[52:53] neg_lo:[0,1] neg_hi:[0,1]
	v_pk_add_f32 v[52:53], v[32:33], v[52:53] neg_lo:[0,1] neg_hi:[0,1]
	v_pk_fma_f32 v[50:51], v[50:51], v[50:51], v[36:37] op_sel:[1,0,0]
	v_pk_fma_f32 v[52:53], v[52:53], v[52:53], v[34:35] op_sel:[1,0,0]
	s_waitcnt lgkmcnt(0)
	v_cmp_eq_u16_e32 vcc, 49, v54
	s_cmp_lg_u32 s10, s3
	v_cndmask_b32_e32 v36, v36, v50, vcc
	v_cndmask_b32_e32 v37, v37, v51, vcc
	;; [unrolled: 1-line block ×4, first 2 shown]
	s_cbranch_scc1 .LBB0_65
.LBB0_66:                               ;   in Loop: Header=BB0_47 Depth=2
	v_mul_f32_e32 v30, 0x4f800000, v49
	v_cmp_gt_f32_e32 vcc, s46, v49
	v_cndmask_b32_e32 v30, v49, v30, vcc
	v_sqrt_f32_e32 v31, v30
	v_add_u32_e32 v32, -1, v31
	v_fma_f32 v49, -v32, v31, v30
	v_add_u32_e32 v33, 1, v31
	v_cmp_ge_f32_e64 s[2:3], 0, v49
	v_cndmask_b32_e64 v32, v31, v32, s[2:3]
	v_fma_f32 v31, -v33, v31, v30
	v_cmp_lt_f32_e64 s[2:3], 0, v31
	v_cndmask_b32_e64 v31, v32, v33, s[2:3]
	v_mul_f32_e32 v33, 0x4f800000, v37
	v_cmp_gt_f32_e64 s[2:3], s46, v37
	v_cndmask_b32_e64 v33, v37, v33, s[2:3]
	v_sqrt_f32_e32 v37, v33
	v_mul_f32_e32 v32, 0x37800000, v31
	v_cndmask_b32_e32 v31, v31, v32, vcc
	v_cmp_class_f32_e32 vcc, v30, v7
	v_cndmask_b32_e32 v30, v31, v30, vcc
	v_add_u32_e32 v31, -1, v37
	v_fma_f32 v32, -v31, v37, v33
	v_cmp_ge_f32_e32 vcc, 0, v32
	v_add_u32_e32 v32, 1, v37
	v_cndmask_b32_e32 v31, v37, v31, vcc
	v_fma_f32 v37, -v32, v37, v33
	v_cmp_lt_f32_e32 vcc, 0, v37
	v_cndmask_b32_e32 v31, v31, v32, vcc
	v_mul_f32_e32 v32, 0x37800000, v31
	v_cndmask_b32_e64 v31, v31, v32, s[2:3]
	v_cmp_class_f32_e32 vcc, v33, v7
	v_cndmask_b32_e32 v31, v31, v33, vcc
	v_mul_f32_e32 v30, v30, v31
	v_div_scale_f32 v31, s[2:3], v30, v30, v36
	v_rcp_f32_e32 v32, v31
	v_fma_f32 v33, -v31, v32, 1.0
	v_fmac_f32_e32 v32, v33, v32
	v_div_scale_f32 v33, vcc, v36, v30, v36
	v_mul_f32_e32 v37, v33, v32
	v_fma_f32 v49, -v31, v37, v33
	v_fmac_f32_e32 v37, v49, v32
	v_fma_f32 v31, -v31, v37, v33
	v_div_fmas_f32 v31, v31, v32, v37
	v_div_fixup_f32 v30, v31, v30, v36
	v_cmp_gt_f32_e64 s[2:3], |v30|, s11
	s_and_saveexec_b64 s[26:27], s[2:3]
	s_cbranch_execz .LBB0_45
; %bb.67:                               ;   in Loop: Header=BB0_47 Depth=2
	s_and_b64 vcc, exec, s[0:1]
	s_cbranch_vccnz .LBB0_70
; %bb.68:                               ;   in Loop: Header=BB0_47 Depth=2
	s_mov_b32 s2, 0
	v_pk_mov_b32 v[30:31], v[18:19], v[18:19] op_sel:[0,1]
.LBB0_69:                               ;   Parent Loop BB0_4 Depth=1
                                        ;     Parent Loop BB0_47 Depth=2
                                        ; =>    This Inner Loop Header: Depth=3
	s_add_i32 s3, s49, s2
	v_mov_b32_e32 v32, s3
	ds_read_u8 v32, v32
	s_add_i32 s2, s2, 1
	s_cmp_eq_u32 s10, s2
	s_waitcnt lgkmcnt(0)
	global_store_byte v[30:31], v32, off
	v_add_co_u32_e32 v30, vcc, 1, v30
	v_addc_co_u32_e32 v31, vcc, 0, v31, vcc
	s_cbranch_scc0 .LBB0_69
.LBB0_70:                               ;   in Loop: Header=BB0_47 Depth=2
	v_mul_f32_e32 v30, 0x4f800000, v48
	v_cmp_gt_f32_e32 vcc, s46, v48
	v_cndmask_b32_e32 v30, v48, v30, vcc
	v_sqrt_f32_e32 v31, v30
	v_add_u32_e32 v32, -1, v31
	v_fma_f32 v36, -v32, v31, v30
	v_add_u32_e32 v33, 1, v31
	v_cmp_ge_f32_e64 s[2:3], 0, v36
	v_cndmask_b32_e64 v32, v31, v32, s[2:3]
	v_fma_f32 v31, -v33, v31, v30
	v_cmp_lt_f32_e64 s[2:3], 0, v31
	v_cndmask_b32_e64 v31, v32, v33, s[2:3]
	v_mul_f32_e32 v33, 0x4f800000, v35
	v_cmp_gt_f32_e64 s[2:3], s46, v35
	v_cndmask_b32_e64 v33, v35, v33, s[2:3]
	v_sqrt_f32_e32 v35, v33
	v_mul_f32_e32 v32, 0x37800000, v31
	v_cndmask_b32_e32 v31, v31, v32, vcc
	v_cmp_class_f32_e32 vcc, v30, v7
	v_cndmask_b32_e32 v30, v31, v30, vcc
	v_add_u32_e32 v31, -1, v35
	v_fma_f32 v32, -v31, v35, v33
	v_cmp_ge_f32_e32 vcc, 0, v32
	v_add_u32_e32 v32, 1, v35
	v_cndmask_b32_e32 v31, v35, v31, vcc
	v_fma_f32 v35, -v32, v35, v33
	v_cmp_lt_f32_e32 vcc, 0, v35
	v_cndmask_b32_e32 v31, v31, v32, vcc
	v_mul_f32_e32 v32, 0x37800000, v31
	v_cndmask_b32_e64 v31, v31, v32, s[2:3]
	v_cmp_class_f32_e32 vcc, v33, v7
	v_cndmask_b32_e32 v31, v31, v33, vcc
	v_mul_f32_e32 v30, v30, v31
	v_div_scale_f32 v31, s[2:3], v30, v30, v34
	v_rcp_f32_e32 v32, v31
	v_fma_f32 v33, -v31, v32, 1.0
	v_fmac_f32_e32 v32, v33, v32
	v_div_scale_f32 v33, vcc, v34, v30, v34
	v_mul_f32_e32 v35, v33, v32
	v_fma_f32 v36, -v31, v35, v33
	v_fmac_f32_e32 v35, v36, v32
	v_fma_f32 v31, -v31, v35, v33
	v_div_fmas_f32 v31, v31, v32, v35
	v_div_fixup_f32 v30, v31, v30, v34
	v_cmp_gt_f32_e64 s[2:3], |v30|, s11
	v_cndmask_b32_e64 v49, 0, 1, s[2:3]
	s_and_b64 vcc, exec, s[20:21]
	s_cbranch_vccz .LBB0_72
; %bb.71:                               ;   in Loop: Header=BB0_47 Depth=2
	global_store_byte v[8:9], v41, off
	global_store_byte v[28:29], v41, off
	s_mov_b32 s4, 1
	s_mov_b32 s28, 2
	v_mov_b32_e32 v48, s28
	v_mov_b32_e32 v50, s4
	s_cbranch_execz .LBB0_73
	s_branch .LBB0_103
.LBB0_72:                               ;   in Loop: Header=BB0_47 Depth=2
                                        ; implicit-def: $sgpr28
                                        ; implicit-def: $sgpr4
	v_mov_b32_e32 v48, s28
	v_mov_b32_e32 v50, s4
.LBB0_73:                               ;   in Loop: Header=BB0_47 Depth=2
	s_mov_b64 s[2:3], 0
.LBB0_74:                               ;   Parent Loop BB0_4 Depth=1
                                        ;     Parent Loop BB0_47 Depth=2
                                        ; =>    This Inner Loop Header: Depth=3
	v_add_co_u32_e32 v30, vcc, s2, v20
	s_add_u32 s2, s2, 1
	v_mov_b32_e32 v31, s3
	s_addc_u32 s3, s3, 0
	v_addc_co_u32_e32 v31, vcc, v21, v31, vcc
	s_cmp_lg_u32 s8, s2
	global_store_byte v[30:31], v42, off
	s_cbranch_scc1 .LBB0_74
; %bb.75:                               ;   in Loop: Header=BB0_47 Depth=2
	s_mov_b32 s28, 0
	v_mov_b32_e32 v48, 2
	v_mov_b32_e32 v50, 1
	s_mov_b32 s50, 0
	global_store_byte v[8:9], v41, off
	global_store_byte v[28:29], v41, off
	s_branch .LBB0_78
.LBB0_76:                               ;   in Loop: Header=BB0_78 Depth=3
	s_or_b64 exec, exec, s[2:3]
.LBB0_77:                               ;   in Loop: Header=BB0_78 Depth=3
	s_or_b64 exec, exec, s[30:31]
	s_add_i32 s50, s50, 1
	s_add_i32 s28, s28, s9
	s_cmp_eq_u32 s50, s8
	s_cbranch_scc1 .LBB0_103
.LBB0_78:                               ;   Parent Loop BB0_4 Depth=1
                                        ;     Parent Loop BB0_47 Depth=2
                                        ; =>    This Loop Header: Depth=3
                                        ;         Child Loop BB0_81 Depth 4
                                        ;           Child Loop BB0_84 Depth 5
                                        ;           Child Loop BB0_87 Depth 5
                                        ;           Child Loop BB0_90 Depth 5
                                        ;           Child Loop BB0_93 Depth 5
	v_cmp_ne_u32_e32 vcc, s50, v1
	v_cmp_ne_u32_e64 s[2:3], s50, v0
	s_and_b64 s[2:3], vcc, s[2:3]
	s_and_saveexec_b64 s[30:31], s[2:3]
	s_cbranch_execz .LBB0_77
; %bb.79:                               ;   in Loop: Header=BB0_78 Depth=3
	s_mov_b32 s29, s5
	s_lshl_b64 s[2:3], s[28:29], 2
	s_add_u32 s34, s6, s2
	s_mov_b32 s4, 0
	s_addc_u32 s35, s7, s3
	s_mov_b64 s[36:37], 0
	v_mov_b32_e32 v51, 0
	v_mov_b32_e32 v52, 0
	s_mov_b32 s29, s4
	s_branch .LBB0_81
.LBB0_80:                               ;   in Loop: Header=BB0_81 Depth=4
	s_or_b64 exec, exec, s[40:41]
	s_and_b64 s[2:3], exec, s[38:39]
	s_or_b64 s[36:37], s[2:3], s[36:37]
	s_andn2_b64 exec, exec, s[36:37]
	s_cbranch_execz .LBB0_101
.LBB0_81:                               ;   Parent Loop BB0_4 Depth=1
                                        ;     Parent Loop BB0_47 Depth=2
                                        ;       Parent Loop BB0_78 Depth=3
                                        ; =>      This Loop Header: Depth=4
                                        ;           Child Loop BB0_84 Depth 5
                                        ;           Child Loop BB0_87 Depth 5
	;; [unrolled: 1-line block ×4, first 2 shown]
	v_add_u32_e32 v30, s29, v39
	v_ashrrev_i32_e32 v31, 31, v30
	v_mov_b32_e32 v32, s17
	v_add_co_u32_e32 v30, vcc, s16, v30
	v_addc_co_u32_e32 v31, vcc, v32, v31, vcc
	global_load_ubyte v30, v[30:31], off
	s_mov_b64 s[38:39], -1
	s_mov_b64 s[2:3], -1
                                        ; implicit-def: $sgpr42
	s_waitcnt vmcnt(0)
	v_cmp_eq_u16_e32 vcc, 49, v30
	s_and_saveexec_b64 s[40:41], vcc
	s_cbranch_execz .LBB0_99
; %bb.82:                               ;   in Loop: Header=BB0_81 Depth=4
	s_mov_b32 s42, 0
	v_mov_b32_e32 v31, 0
	s_and_b64 vcc, exec, s[0:1]
	v_mov_b32_e32 v30, 0
	s_cbranch_vccnz .LBB0_85
; %bb.83:                               ;   in Loop: Header=BB0_81 Depth=4
	s_movk_i32 s43, 0x320
	v_mov_b32_e32 v31, 0
	s_mov_b64 s[2:3], s[34:35]
	v_mov_b32_e32 v30, 0
.LBB0_84:                               ;   Parent Loop BB0_4 Depth=1
                                        ;     Parent Loop BB0_47 Depth=2
                                        ;       Parent Loop BB0_78 Depth=3
                                        ;         Parent Loop BB0_81 Depth=4
                                        ; =>        This Inner Loop Header: Depth=5
	s_add_i32 s52, s49, s42
	v_mov_b32_e32 v33, s52
	s_load_dword s51, s[2:3], 0x0
	ds_read_u8 v33, v33
	v_mov_b32_e32 v32, s43
	s_add_i32 s42, s42, 1
	s_add_i32 s43, s43, 4
	s_add_u32 s2, s2, 4
	s_addc_u32 s3, s3, 0
	s_waitcnt lgkmcnt(0)
	v_add_f32_e32 v35, s51, v30
	v_add_f32_e32 v36, s51, v31
	v_cmp_eq_u16_e32 vcc, 49, v33
	s_cmp_lg_u32 s10, s42
	v_mov_b32_e32 v34, s51
	v_cndmask_b32_e32 v30, v30, v35, vcc
	v_cndmask_b32_e32 v31, v36, v31, vcc
	ds_write_b32 v32, v34
	s_cbranch_scc1 .LBB0_84
.LBB0_85:                               ;   in Loop: Header=BB0_81 Depth=4
	v_div_scale_f32 v32, s[2:3], v46, v46, v30
	v_rcp_f32_e32 v33, v32
	v_div_scale_f32 v34, vcc, v30, v46, v30
	v_mov_b32_e32 v53, 0
	v_fma_f32 v35, -v32, v33, 1.0
	v_fmac_f32_e32 v33, v35, v33
	v_mul_f32_e32 v35, v34, v33
	v_fma_f32 v36, -v32, v35, v34
	v_fmac_f32_e32 v35, v36, v33
	v_fma_f32 v32, -v32, v35, v34
	v_div_scale_f32 v34, s[2:3], v47, v47, v31
	v_rcp_f32_e32 v36, v34
	v_div_fmas_f32 v32, v32, v33, v35
	v_div_fixup_f32 v30, v32, v46, v30
	s_mov_b32 s2, 0
	v_fma_f32 v32, -v34, v36, 1.0
	v_fmac_f32_e32 v36, v32, v36
	v_div_scale_f32 v32, vcc, v31, v47, v31
	v_mul_f32_e32 v33, v32, v36
	v_fma_f32 v35, -v34, v33, v32
	v_fmac_f32_e32 v33, v35, v36
	v_fma_f32 v32, -v34, v33, v32
	v_div_fmas_f32 v32, v32, v36, v33
	v_div_fixup_f32 v32, v32, v47, v31
	s_and_b64 vcc, exec, s[0:1]
	v_mov_b32_e32 v54, 0
	s_cbranch_vccnz .LBB0_88
; %bb.86:                               ;   in Loop: Header=BB0_81 Depth=4
	s_movk_i32 s3, 0x320
	v_mov_b32_e32 v53, 0
	v_mov_b32_e32 v54, 0
.LBB0_87:                               ;   Parent Loop BB0_4 Depth=1
                                        ;     Parent Loop BB0_47 Depth=2
                                        ;       Parent Loop BB0_78 Depth=3
                                        ;         Parent Loop BB0_81 Depth=4
                                        ; =>        This Inner Loop Header: Depth=5
	s_add_i32 s42, s49, s2
	v_mov_b32_e32 v31, s3
	ds_read_b32 v31, v31
	v_mov_b32_e32 v33, s42
	ds_read_u8 v33, v33
	s_add_i32 s2, s2, 1
	s_add_i32 s3, s3, 4
	s_waitcnt lgkmcnt(1)
	v_sub_f32_e32 v34, v30, v31
	v_sub_f32_e32 v31, v32, v31
	v_fma_f32 v34, v34, v34, v54
	v_fma_f32 v31, v31, v31, v53
	s_waitcnt lgkmcnt(0)
	v_cmp_eq_u16_e32 vcc, 49, v33
	s_cmp_eq_u32 s10, s2
	v_cndmask_b32_e32 v54, v54, v34, vcc
	v_cndmask_b32_e32 v53, v31, v53, vcc
	s_cbranch_scc0 .LBB0_87
.LBB0_88:                               ;   in Loop: Header=BB0_81 Depth=4
	s_mov_b32 s42, 0
	v_mov_b32_e32 v33, 0
	s_and_b64 vcc, exec, s[0:1]
	v_mov_b32_e32 v31, 0
	s_cbranch_vccnz .LBB0_91
; %bb.89:                               ;   in Loop: Header=BB0_81 Depth=4
	s_lshl_b64 s[2:3], s[4:5], 2
	s_add_u32 s2, s6, s2
	s_addc_u32 s3, s7, s3
	s_mov_b32 s43, 0
	v_mov_b32_e32 v33, 0
	v_mov_b32_e32 v31, 0
.LBB0_90:                               ;   Parent Loop BB0_4 Depth=1
                                        ;     Parent Loop BB0_47 Depth=2
                                        ;       Parent Loop BB0_78 Depth=3
                                        ;         Parent Loop BB0_81 Depth=4
                                        ; =>        This Inner Loop Header: Depth=5
	s_add_i32 s52, s49, s43
	v_mov_b32_e32 v35, s52
	s_load_dword s51, s[2:3], 0x0
	ds_read_u8 v35, v35
	v_mov_b32_e32 v34, s42
	s_add_i32 s43, s43, 1
	s_add_i32 s42, s42, 4
	s_add_u32 s2, s2, 4
	s_addc_u32 s3, s3, 0
	s_waitcnt lgkmcnt(0)
	v_add_f32_e32 v37, s51, v31
	v_add_f32_e32 v55, s51, v33
	v_cmp_eq_u16_e32 vcc, 49, v35
	s_cmp_lg_u32 s10, s43
	v_mov_b32_e32 v36, s51
	v_cndmask_b32_e32 v31, v31, v37, vcc
	v_cndmask_b32_e32 v33, v55, v33, vcc
	ds_write_b32 v34, v36
	s_cbranch_scc1 .LBB0_90
.LBB0_91:                               ;   in Loop: Header=BB0_81 Depth=4
	v_mov_b32_e32 v35, 0
	s_and_b64 vcc, exec, s[0:1]
	v_mov_b32_e32 v34, v35
	v_mov_b32_e32 v37, v35
	;; [unrolled: 1-line block ×3, first 2 shown]
	s_cbranch_vccnz .LBB0_94
; %bb.92:                               ;   in Loop: Header=BB0_81 Depth=4
	v_div_scale_f32 v34, s[2:3], v46, v46, v31
	v_rcp_f32_e32 v35, v34
	v_div_scale_f32 v36, vcc, v31, v46, v31
	v_fma_f32 v37, -v34, v35, 1.0
	v_fmac_f32_e32 v35, v37, v35
	v_mul_f32_e32 v37, v36, v35
	v_fma_f32 v55, -v34, v37, v36
	v_fmac_f32_e32 v37, v55, v35
	v_fma_f32 v34, -v34, v37, v36
	v_div_scale_f32 v36, s[2:3], v47, v47, v33
	v_rcp_f32_e32 v55, v36
	v_div_fmas_f32 v34, v34, v35, v37
	v_div_fixup_f32 v31, v34, v46, v31
	s_mov_b32 s2, 0
	v_fma_f32 v34, -v36, v55, 1.0
	v_fmac_f32_e32 v55, v34, v55
	v_div_scale_f32 v34, vcc, v33, v47, v33
	v_mul_f32_e32 v35, v34, v55
	v_fma_f32 v37, -v36, v35, v34
	v_fmac_f32_e32 v35, v37, v55
	v_fma_f32 v34, -v36, v35, v34
	v_div_fmas_f32 v34, v34, v55, v35
	v_div_fixup_f32 v33, v34, v47, v33
	s_mov_b32 s3, 0
	v_mov_b32_e32 v36, 0
	v_mov_b32_e32 v37, 0
	;; [unrolled: 1-line block ×4, first 2 shown]
.LBB0_93:                               ;   Parent Loop BB0_4 Depth=1
                                        ;     Parent Loop BB0_47 Depth=2
                                        ;       Parent Loop BB0_78 Depth=3
                                        ;         Parent Loop BB0_81 Depth=4
                                        ; =>        This Inner Loop Header: Depth=5
	v_mov_b32_e32 v55, s2
	s_add_i32 s42, s49, s3
	ds_read2_b32 v[56:57], v55 offset1:200
	v_mov_b32_e32 v55, s42
	ds_read_u8 v55, v55
	s_add_i32 s3, s3, 1
	s_add_i32 s2, s2, 4
	s_waitcnt lgkmcnt(1)
	v_mov_b32_e32 v58, v57
	v_mov_b32_e32 v59, v56
	v_pk_add_f32 v[56:57], v[30:31], v[58:59] neg_lo:[0,1] neg_hi:[0,1]
	v_pk_add_f32 v[58:59], v[32:33], v[58:59] neg_lo:[0,1] neg_hi:[0,1]
	v_pk_fma_f32 v[56:57], v[56:57], v[56:57], v[36:37] op_sel:[1,0,0]
	v_pk_fma_f32 v[58:59], v[58:59], v[58:59], v[34:35] op_sel:[1,0,0]
	s_waitcnt lgkmcnt(0)
	v_cmp_eq_u16_e32 vcc, 49, v55
	s_cmp_lg_u32 s10, s3
	v_cndmask_b32_e32 v36, v36, v56, vcc
	v_cndmask_b32_e32 v37, v37, v57, vcc
	;; [unrolled: 1-line block ×4, first 2 shown]
	s_cbranch_scc1 .LBB0_93
.LBB0_94:                               ;   in Loop: Header=BB0_81 Depth=4
	v_mul_f32_e32 v30, 0x4f800000, v54
	v_cmp_gt_f32_e32 vcc, s46, v54
	v_cndmask_b32_e32 v30, v54, v30, vcc
	v_sqrt_f32_e32 v31, v30
	v_add_u32_e32 v32, -1, v31
	v_fma_f32 v54, -v32, v31, v30
	v_add_u32_e32 v33, 1, v31
	v_cmp_ge_f32_e64 s[2:3], 0, v54
	v_cndmask_b32_e64 v32, v31, v32, s[2:3]
	v_fma_f32 v31, -v33, v31, v30
	v_cmp_lt_f32_e64 s[2:3], 0, v31
	v_cndmask_b32_e64 v31, v32, v33, s[2:3]
	v_mul_f32_e32 v33, 0x4f800000, v37
	v_cmp_gt_f32_e64 s[2:3], s46, v37
	v_cndmask_b32_e64 v33, v37, v33, s[2:3]
	v_sqrt_f32_e32 v37, v33
	v_mul_f32_e32 v32, 0x37800000, v31
	v_cndmask_b32_e32 v31, v31, v32, vcc
	v_cmp_class_f32_e32 vcc, v30, v7
	v_cndmask_b32_e32 v30, v31, v30, vcc
	v_add_u32_e32 v31, -1, v37
	v_fma_f32 v32, -v31, v37, v33
	v_cmp_ge_f32_e32 vcc, 0, v32
	v_add_u32_e32 v32, 1, v37
	v_cndmask_b32_e32 v31, v37, v31, vcc
	v_fma_f32 v37, -v32, v37, v33
	v_cmp_lt_f32_e32 vcc, 0, v37
	v_cndmask_b32_e32 v31, v31, v32, vcc
	v_mul_f32_e32 v32, 0x37800000, v31
	v_cndmask_b32_e64 v31, v31, v32, s[2:3]
	v_cmp_class_f32_e32 vcc, v33, v7
	v_cndmask_b32_e32 v31, v31, v33, vcc
	v_mul_f32_e32 v30, v30, v31
	v_div_scale_f32 v31, s[2:3], v30, v30, v36
	v_rcp_f32_e32 v32, v31
	s_mov_b64 s[2:3], 0
	v_fma_f32 v33, -v31, v32, 1.0
	v_fmac_f32_e32 v32, v33, v32
	v_div_scale_f32 v33, vcc, v36, v30, v36
	v_mul_f32_e32 v37, v33, v32
	v_fma_f32 v54, -v31, v37, v33
	v_fmac_f32_e32 v37, v54, v32
	v_fma_f32 v31, -v31, v37, v33
	v_div_fmas_f32 v31, v31, v32, v37
	v_div_fixup_f32 v30, v31, v30, v36
	v_cmp_gt_f32_e64 s[52:53], |v30|, s11
	s_and_saveexec_b64 s[42:43], s[52:53]
	s_cbranch_execz .LBB0_98
; %bb.95:                               ;   in Loop: Header=BB0_81 Depth=4
	v_mul_f32_e32 v30, 0x4f800000, v53
	v_cmp_gt_f32_e32 vcc, s46, v53
	v_cndmask_b32_e32 v30, v53, v30, vcc
	v_sqrt_f32_e32 v31, v30
	v_add_u32_e32 v32, -1, v31
	v_fma_f32 v36, -v32, v31, v30
	v_add_u32_e32 v33, 1, v31
	v_cmp_ge_f32_e64 s[2:3], 0, v36
	v_cndmask_b32_e64 v32, v31, v32, s[2:3]
	v_fma_f32 v31, -v33, v31, v30
	v_cmp_lt_f32_e64 s[2:3], 0, v31
	v_cndmask_b32_e64 v31, v32, v33, s[2:3]
	v_mul_f32_e32 v33, 0x4f800000, v35
	v_cmp_gt_f32_e64 s[2:3], s46, v35
	v_cndmask_b32_e64 v33, v35, v33, s[2:3]
	v_sqrt_f32_e32 v35, v33
	v_mul_f32_e32 v32, 0x37800000, v31
	v_cndmask_b32_e32 v31, v31, v32, vcc
	v_cmp_class_f32_e32 vcc, v30, v7
	v_cndmask_b32_e32 v30, v31, v30, vcc
	v_add_u32_e32 v31, -1, v35
	v_fma_f32 v32, -v31, v35, v33
	v_cmp_ge_f32_e32 vcc, 0, v32
	v_add_u32_e32 v32, 1, v35
	v_cndmask_b32_e32 v31, v35, v31, vcc
	v_fma_f32 v35, -v32, v35, v33
	v_cmp_lt_f32_e32 vcc, 0, v35
	v_cndmask_b32_e32 v31, v31, v32, vcc
	v_mul_f32_e32 v32, 0x37800000, v31
	v_cndmask_b32_e64 v31, v31, v32, s[2:3]
	v_cmp_class_f32_e32 vcc, v33, v7
	v_cndmask_b32_e32 v31, v31, v33, vcc
	v_mul_f32_e32 v30, v30, v31
	v_div_scale_f32 v31, s[2:3], v30, v30, v34
	v_rcp_f32_e32 v32, v31
	v_fma_f32 v33, -v31, v32, 1.0
	v_fmac_f32_e32 v32, v33, v32
	v_div_scale_f32 v33, vcc, v34, v30, v34
	v_mul_f32_e32 v35, v33, v32
	v_fma_f32 v36, -v31, v35, v33
	v_fmac_f32_e32 v35, v36, v32
	v_fma_f32 v31, -v31, v35, v33
	v_div_fmas_f32 v31, v31, v32, v35
	v_div_fixup_f32 v30, v31, v30, v34
	v_cmp_gt_f32_e64 s[52:53], |v30|, s11
	s_and_saveexec_b64 s[2:3], s[52:53]
; %bb.96:                               ;   in Loop: Header=BB0_81 Depth=4
	v_add_u32_e32 v51, 1, v51
; %bb.97:                               ;   in Loop: Header=BB0_81 Depth=4
	s_or_b64 exec, exec, s[2:3]
	s_mov_b64 s[2:3], exec
	v_add_u32_e32 v52, 1, v52
.LBB0_98:                               ;   in Loop: Header=BB0_81 Depth=4
	s_or_b64 exec, exec, s[42:43]
	s_mov_b32 s42, 0
	s_orn2_b64 s[2:3], s[2:3], exec
.LBB0_99:                               ;   in Loop: Header=BB0_81 Depth=4
	s_or_b64 exec, exec, s[40:41]
	v_mov_b32_e32 v30, s42
	s_and_saveexec_b64 s[40:41], s[2:3]
	s_cbranch_execz .LBB0_80
; %bb.100:                              ;   in Loop: Header=BB0_81 Depth=4
	s_add_i32 s29, s29, 1
	s_add_i32 s4, s4, s9
	s_cmp_eq_u32 s29, s8
	s_cselect_b64 s[2:3], -1, 0
	s_orn2_b64 s[38:39], s[2:3], exec
	v_mov_b32_e32 v30, v52
	s_branch .LBB0_80
.LBB0_101:                              ;   in Loop: Header=BB0_78 Depth=3
	s_or_b64 exec, exec, s[36:37]
	v_cmp_lt_i32_e32 vcc, 0, v30
	s_and_saveexec_b64 s[2:3], vcc
	s_cbranch_execz .LBB0_76
; %bb.102:                              ;   in Loop: Header=BB0_78 Depth=3
	v_add_u32_e32 v50, v30, v50
	v_add_u32_e32 v30, s50, v39
	v_ashrrev_i32_e32 v31, 31, v30
	v_mov_b32_e32 v32, s17
	v_add_co_u32_e32 v30, vcc, s16, v30
	v_add_u32_e32 v49, v51, v49
	v_add_u32_e32 v48, 1, v48
	v_addc_co_u32_e32 v31, vcc, v32, v31, vcc
	global_store_byte v[30:31], v41, off
	s_branch .LBB0_76
.LBB0_103:                              ;   in Loop: Header=BB0_47 Depth=2
	v_cvt_f32_i32_e32 v30, v49
	v_cvt_f32_u32_e32 v31, v50
	v_div_scale_f32 v32, s[2:3], v31, v31, v30
	v_rcp_f32_e32 v33, v32
	v_div_scale_f32 v34, vcc, v30, v31, v30
	v_fma_f32 v35, -v32, v33, 1.0
	v_fmac_f32_e32 v33, v35, v33
	v_mul_f32_e32 v35, v34, v33
	v_fma_f32 v36, -v32, v35, v34
	v_fmac_f32_e32 v35, v36, v33
	v_fma_f32 v32, -v32, v35, v34
	v_div_fmas_f32 v32, v32, v33, v35
	v_div_fixup_f32 v30, v32, v31, v30
	v_cmp_gt_f32_e32 vcc, s47, v30
	s_and_saveexec_b64 s[2:3], vcc
	s_cbranch_execz .LBB0_44
; %bb.104:                              ;   in Loop: Header=BB0_47 Depth=2
	v_max_i32_e32 v31, 10, v40
	v_cmp_lt_i32_e32 vcc, v31, v48
	s_and_saveexec_b64 s[28:29], vcc
	s_cbranch_execz .LBB0_43
; %bb.105:                              ;   in Loop: Header=BB0_47 Depth=2
	global_store_dword v[2:3], v30, off
	s_andn2_b64 vcc, exec, s[18:19]
	v_pk_mov_b32 v[30:31], v[22:23], v[22:23] op_sel:[0,1]
	v_pk_mov_b32 v[32:33], v[20:21], v[20:21] op_sel:[0,1]
	s_mov_b32 s4, s8
	s_cbranch_vccnz .LBB0_107
.LBB0_106:                              ;   Parent Loop BB0_4 Depth=1
                                        ;     Parent Loop BB0_47 Depth=2
                                        ; =>    This Inner Loop Header: Depth=3
	global_load_ubyte v34, v[32:33], off
	v_add_co_u32_e32 v32, vcc, 1, v32
	v_addc_co_u32_e32 v33, vcc, 0, v33, vcc
	s_add_i32 s4, s4, -1
	s_cmp_eq_u32 s4, 0
	s_waitcnt vmcnt(0)
	global_store_byte v[30:31], v34, off
	v_add_co_u32_e32 v30, vcc, 1, v30
	v_addc_co_u32_e32 v31, vcc, 0, v31, vcc
	s_cbranch_scc0 .LBB0_106
.LBB0_107:                              ;   in Loop: Header=BB0_47 Depth=2
	s_and_b64 vcc, exec, s[0:1]
	v_pk_mov_b32 v[30:31], v[24:25], v[24:25] op_sel:[0,1]
	v_pk_mov_b32 v[32:33], v[18:19], v[18:19] op_sel:[0,1]
	s_mov_b32 s4, s10
	s_cbranch_vccnz .LBB0_42
.LBB0_108:                              ;   Parent Loop BB0_4 Depth=1
                                        ;     Parent Loop BB0_47 Depth=2
                                        ; =>    This Inner Loop Header: Depth=3
	global_load_ubyte v34, v[32:33], off
	v_add_co_u32_e32 v32, vcc, 1, v32
	v_addc_co_u32_e32 v33, vcc, 0, v33, vcc
	s_add_i32 s4, s4, -1
	s_cmp_lg_u32 s4, 0
	s_waitcnt vmcnt(0)
	global_store_byte v[30:31], v34, off
	v_add_co_u32_e32 v30, vcc, 1, v30
	v_addc_co_u32_e32 v31, vcc, 0, v31, vcc
	s_cbranch_scc1 .LBB0_108
	s_branch .LBB0_42
.LBB0_109:
	s_endpgm
	.section	.rodata,"a",@progbits
	.p2align	6, 0x0
	.amdhsa_kernel _Z17compute_biclusterPKfiiifPcS1_PfPiS3_S1_S1_
		.amdhsa_group_segment_fixed_size 2200
		.amdhsa_private_segment_fixed_size 0
		.amdhsa_kernarg_size 336
		.amdhsa_user_sgpr_count 6
		.amdhsa_user_sgpr_private_segment_buffer 1
		.amdhsa_user_sgpr_dispatch_ptr 0
		.amdhsa_user_sgpr_queue_ptr 0
		.amdhsa_user_sgpr_kernarg_segment_ptr 1
		.amdhsa_user_sgpr_dispatch_id 0
		.amdhsa_user_sgpr_flat_scratch_init 0
		.amdhsa_user_sgpr_kernarg_preload_length 0
		.amdhsa_user_sgpr_kernarg_preload_offset 0
		.amdhsa_user_sgpr_private_segment_size 0
		.amdhsa_uses_dynamic_stack 0
		.amdhsa_system_sgpr_private_segment_wavefront_offset 0
		.amdhsa_system_sgpr_workgroup_id_x 1
		.amdhsa_system_sgpr_workgroup_id_y 0
		.amdhsa_system_sgpr_workgroup_id_z 0
		.amdhsa_system_sgpr_workgroup_info 0
		.amdhsa_system_vgpr_workitem_id 0
		.amdhsa_next_free_vgpr 60
		.amdhsa_next_free_sgpr 54
		.amdhsa_accum_offset 60
		.amdhsa_reserve_vcc 1
		.amdhsa_reserve_flat_scratch 0
		.amdhsa_float_round_mode_32 0
		.amdhsa_float_round_mode_16_64 0
		.amdhsa_float_denorm_mode_32 3
		.amdhsa_float_denorm_mode_16_64 3
		.amdhsa_dx10_clamp 1
		.amdhsa_ieee_mode 1
		.amdhsa_fp16_overflow 0
		.amdhsa_tg_split 0
		.amdhsa_exception_fp_ieee_invalid_op 0
		.amdhsa_exception_fp_denorm_src 0
		.amdhsa_exception_fp_ieee_div_zero 0
		.amdhsa_exception_fp_ieee_overflow 0
		.amdhsa_exception_fp_ieee_underflow 0
		.amdhsa_exception_fp_ieee_inexact 0
		.amdhsa_exception_int_div_zero 0
	.end_amdhsa_kernel
	.text
.Lfunc_end0:
	.size	_Z17compute_biclusterPKfiiifPcS1_PfPiS3_S1_S1_, .Lfunc_end0-_Z17compute_biclusterPKfiiifPcS1_PfPiS3_S1_S1_
                                        ; -- End function
	.section	.AMDGPU.csdata,"",@progbits
; Kernel info:
; codeLenInByte = 5148
; NumSgprs: 58
; NumVgprs: 60
; NumAgprs: 0
; TotalNumVgprs: 60
; ScratchSize: 0
; MemoryBound: 0
; FloatMode: 240
; IeeeMode: 1
; LDSByteSize: 2200 bytes/workgroup (compile time only)
; SGPRBlocks: 7
; VGPRBlocks: 7
; NumSGPRsForWavesPerEU: 58
; NumVGPRsForWavesPerEU: 60
; AccumOffset: 60
; Occupancy: 8
; WaveLimiterHint : 0
; COMPUTE_PGM_RSRC2:SCRATCH_EN: 0
; COMPUTE_PGM_RSRC2:USER_SGPR: 6
; COMPUTE_PGM_RSRC2:TRAP_HANDLER: 0
; COMPUTE_PGM_RSRC2:TGID_X_EN: 1
; COMPUTE_PGM_RSRC2:TGID_Y_EN: 0
; COMPUTE_PGM_RSRC2:TGID_Z_EN: 0
; COMPUTE_PGM_RSRC2:TIDIG_COMP_CNT: 0
; COMPUTE_PGM_RSRC3_GFX90A:ACCUM_OFFSET: 14
; COMPUTE_PGM_RSRC3_GFX90A:TG_SPLIT: 0
	.text
	.p2alignl 6, 3212836864
	.fill 256, 4, 3212836864
	.type	__hip_cuid_10a52008c5a64f29,@object ; @__hip_cuid_10a52008c5a64f29
	.section	.bss,"aw",@nobits
	.globl	__hip_cuid_10a52008c5a64f29
__hip_cuid_10a52008c5a64f29:
	.byte	0                               ; 0x0
	.size	__hip_cuid_10a52008c5a64f29, 1

	.ident	"AMD clang version 19.0.0git (https://github.com/RadeonOpenCompute/llvm-project roc-6.4.0 25133 c7fe45cf4b819c5991fe208aaa96edf142730f1d)"
	.section	".note.GNU-stack","",@progbits
	.addrsig
	.addrsig_sym __hip_cuid_10a52008c5a64f29
	.amdgpu_metadata
---
amdhsa.kernels:
  - .agpr_count:     0
    .args:
      - .actual_access:  read_only
        .address_space:  global
        .offset:         0
        .size:           8
        .value_kind:     global_buffer
      - .offset:         8
        .size:           4
        .value_kind:     by_value
      - .offset:         12
        .size:           4
        .value_kind:     by_value
      - .offset:         16
        .size:           4
        .value_kind:     by_value
      - .offset:         20
        .size:           4
        .value_kind:     by_value
      - .actual_access:  write_only
        .address_space:  global
        .offset:         24
        .size:           8
        .value_kind:     global_buffer
      - .actual_access:  write_only
        .address_space:  global
        .offset:         32
        .size:           8
        .value_kind:     global_buffer
      - .actual_access:  write_only
        .address_space:  global
        .offset:         40
        .size:           8
        .value_kind:     global_buffer
      - .actual_access:  write_only
        .address_space:  global
        .offset:         48
        .size:           8
        .value_kind:     global_buffer
      - .actual_access:  write_only
        .address_space:  global
        .offset:         56
        .size:           8
        .value_kind:     global_buffer
      - .address_space:  global
        .offset:         64
        .size:           8
        .value_kind:     global_buffer
      - .address_space:  global
        .offset:         72
        .size:           8
        .value_kind:     global_buffer
      - .offset:         80
        .size:           4
        .value_kind:     hidden_block_count_x
      - .offset:         84
        .size:           4
        .value_kind:     hidden_block_count_y
      - .offset:         88
        .size:           4
        .value_kind:     hidden_block_count_z
      - .offset:         92
        .size:           2
        .value_kind:     hidden_group_size_x
      - .offset:         94
        .size:           2
        .value_kind:     hidden_group_size_y
      - .offset:         96
        .size:           2
        .value_kind:     hidden_group_size_z
      - .offset:         98
        .size:           2
        .value_kind:     hidden_remainder_x
      - .offset:         100
        .size:           2
        .value_kind:     hidden_remainder_y
      - .offset:         102
        .size:           2
        .value_kind:     hidden_remainder_z
      - .offset:         120
        .size:           8
        .value_kind:     hidden_global_offset_x
      - .offset:         128
        .size:           8
        .value_kind:     hidden_global_offset_y
      - .offset:         136
        .size:           8
        .value_kind:     hidden_global_offset_z
      - .offset:         144
        .size:           2
        .value_kind:     hidden_grid_dims
    .group_segment_fixed_size: 2200
    .kernarg_segment_align: 8
    .kernarg_segment_size: 336
    .language:       OpenCL C
    .language_version:
      - 2
      - 0
    .max_flat_workgroup_size: 1024
    .name:           _Z17compute_biclusterPKfiiifPcS1_PfPiS3_S1_S1_
    .private_segment_fixed_size: 0
    .sgpr_count:     58
    .sgpr_spill_count: 0
    .symbol:         _Z17compute_biclusterPKfiiifPcS1_PfPiS3_S1_S1_.kd
    .uniform_work_group_size: 1
    .uses_dynamic_stack: false
    .vgpr_count:     60
    .vgpr_spill_count: 0
    .wavefront_size: 64
amdhsa.target:   amdgcn-amd-amdhsa--gfx90a
amdhsa.version:
  - 1
  - 2
...

	.end_amdgpu_metadata
